;; amdgpu-corpus repo=linkedin/Liger-Kernel kind=triton arch=gfx950 opt=O3 lang=triton
	.amdgcn_target "amdgcn-amd-amdhsa--gfx950"
	.amdhsa_code_object_version 5
	.text
	.globl	_dyt_bwd_kernel                 ; -- Begin function _dyt_bwd_kernel
	.p2align	8
	.type	_dyt_bwd_kernel,@function
_dyt_bwd_kernel:                        ; @_dyt_bwd_kernel
.Lfunc_begin0:
	.cfi_sections .debug_frame
	.cfi_startproc
; %bb.57:
	.file	1 "/root/src/amdgpu-assembly/repos/linkedin__Liger-Kernel/triton_aot_kernels" "dyt_aot.py"
	.loc	1 31 0 prologue_end             ; dyt_aot.py:31:0
	s_load_dwordx2 s[2:3], s[0:1], 0x0
	s_load_dwordx8 s[4:11], s[0:1], 0x8
	s_load_dwordx4 s[12:15], s[0:1], 0x28
	s_waitcnt lgkmcnt(0)
	s_branch .LBB0_0
	.loc	1 0 0 is_stmt 0                 ; :0:0
.Ltmp0:
	.p2align	8
; %bb.58:
.LBB0_0:
	s_load_dwordx2 s[18:19], s[0:1], 0x38
.Ltmp1:
	.loc	1 59 69 is_stmt 1               ; dyt_aot.py:59:69
	v_readfirstlane_b32 s33, v0
	s_mov_b32 s22, s17
	.loc	1 34 36                         ; dyt_aot.py:34:36
	s_ashr_i32 s17, s16, 31
	.loc	1 34 71 is_stmt 0               ; dyt_aot.py:34:71
	v_and_b32_e32 v42, 63, v0
	s_and_b32 s30, s33, 0x1c0
	.loc	1 34 48                         ; dyt_aot.py:34:48
	s_lshl_b64 s[24:25], s[16:17], 11
	.loc	1 34 71                         ; dyt_aot.py:34:71
	v_or_b32_e32 v22, s30, v42
	.loc	1 34 58                         ; dyt_aot.py:34:58
	v_or_b32_e32 v2, s24, v22
	v_mov_b32_e32 v3, s25
	s_mov_b64 s[20:21], 0x800
	.loc	1 35 17 is_stmt 1               ; dyt_aot.py:35:17
	v_cmp_gt_i64_e64 s[20:21], s[20:21], v[2:3]
	.loc	1 40 28                         ; dyt_aot.py:40:28
	s_waitcnt lgkmcnt(0)
	v_lshl_add_u64 v[4:5], v[2:3], 2, s[18:19]
	v_mov_b32_e32 v43, 0
	v_mov_b32_e32 v44, 0
	.loc	1 40 20 is_stmt 0               ; dyt_aot.py:40:20
	s_and_saveexec_b64 s[26:27], s[20:21]
	s_cbranch_execz .LBB0_2
; %bb.1:
	global_load_dword v44, v[4:5], off
.LBB0_2:
	.loc	1 0 20                          ; dyt_aot.py:0:20
	s_or_b64 exec, exec, s[26:27]
	.loc	1 40 20                         ; dyt_aot.py:40:20
	s_and_saveexec_b64 s[26:27], s[20:21]
	s_cbranch_execz .LBB0_4
; %bb.3:
	global_load_dword v43, v[4:5], off offset:2048
.LBB0_4:
	.loc	1 0 20                          ; dyt_aot.py:0:20
	s_or_b64 exec, exec, s[26:27]
	.loc	1 34 58 is_stmt 1               ; dyt_aot.py:34:58
	v_or_b32_e32 v4, 0x400, v2
	v_mov_b32_e32 v5, s25
	v_mov_b32_e32 v45, 0
	;; [unrolled: 1-line block ×3, first 2 shown]
	.loc	1 40 20                         ; dyt_aot.py:40:20
	s_and_saveexec_b64 s[26:27], s[20:21]
	s_cbranch_execz .LBB0_6
; %bb.5:
	.loc	1 40 28 is_stmt 0               ; dyt_aot.py:40:28
	v_lshl_add_u64 v[6:7], v[4:5], 2, s[18:19]
	.loc	1 40 20                         ; dyt_aot.py:40:20
	global_load_dword v46, v[6:7], off
.LBB0_6:
	.loc	1 0 20                          ; dyt_aot.py:0:20
	s_or_b64 exec, exec, s[26:27]
	s_load_dword s24, s[0:1], 0x40
	.loc	1 34 58 is_stmt 1               ; dyt_aot.py:34:58
	v_or_b32_e32 v6, 0x600, v2
	v_mov_b32_e32 v7, s25
	.loc	1 40 20                         ; dyt_aot.py:40:20
	s_and_saveexec_b64 s[26:27], s[20:21]
	s_cbranch_execz .LBB0_8
; %bb.7:
	.loc	1 40 28 is_stmt 0               ; dyt_aot.py:40:28
	v_lshl_add_u64 v[8:9], v[6:7], 2, s[18:19]
	.loc	1 40 20                         ; dyt_aot.py:40:20
	global_load_dword v45, v[8:9], off
.LBB0_8:
	.loc	1 0 20                          ; dyt_aot.py:0:20
	s_or_b64 exec, exec, s[26:27]
	.loc	1 36 45 is_stmt 1               ; dyt_aot.py:36:45
	s_ashr_i32 s23, s22, 31
	v_mov_b32_e32 v1, 0
	.loc	1 44 41                         ; dyt_aot.py:44:41
	s_waitcnt lgkmcnt(0)
	s_cmp_ge_i32 s22, s24
	v_mov_b32_e32 v15, 0
	v_mov_b32_e32 v14, 0
	;; [unrolled: 1-line block ×8, first 2 shown]
	s_cbranch_scc1 .LBB0_51
; %bb.9:                                ; %.lr.ph
	.loc	1 44 57 is_stmt 0               ; dyt_aot.py:44:57
	s_load_dword s26, s[0:1], 0x5c
	s_load_dword s34, s[14:15], 0x0
	v_cmp_gt_u32_e64 s[18:19], 8, v0
	v_lshl_add_u32 v47, v0, 2, 0
	v_and_b32_e32 v0, 7, v0
	v_cmp_eq_u32_e32 vcc, 0, v0
	.loc	1 44 41                         ; dyt_aot.py:44:41
	s_lshl_b64 s[36:37], s[22:23], 13
	v_add_lshl_u32 v0, s30, v42, 2
	s_lshr_b32 s0, s33, 4
	v_or_b32_e32 v8, s36, v0
	v_add_u32_e32 v0, 0x1800, v0
	v_lshl_or_b32 v12, v22, 2, s36
	v_mov_b32_e32 v13, s37
	.loc	1 44 57                         ; dyt_aot.py:44:57
	s_waitcnt lgkmcnt(0)
	s_ashr_i32 s27, s26, 31
	s_and_b32 s0, s0, 28
	.loc	1 44 41                         ; dyt_aot.py:44:41
	v_or_b32_e32 v8, 0x1000, v8
	v_mov_b32_e32 v9, s37
	v_lshl_add_u64 v[10:11], s[36:37], 0, v[0:1]
	v_lshl_add_u64 v[22:23], s[4:5], 0, v[12:13]
	v_or_b32_e32 v12, 0x800, v12
                                        ; implicit-def: $vgpr0
                                        ; implicit-def: $vgpr0
	;; [unrolled: 1-line block ×3, first 2 shown]
	s_ashr_i32 s25, s24, 31
	v_cmp_eq_u32_e64 s[14:15], 0, v42
	s_add_i32 s35, s0, 0
	s_and_b64 s[0:1], s[18:19], vcc
	s_lshl_b64 s[28:29], s[16:17], 13
	v_lshl_add_u64 v[16:17], s[4:5], 0, v[8:9]
	s_lshl_b64 s[30:31], s[26:27], 13
	v_lshl_add_u64 v[18:19], s[4:5], 0, v[10:11]
	v_lshl_add_u64 v[20:21], s[12:13], 0, v[8:9]
	;; [unrolled: 1-line block ×7, first 2 shown]
	s_mov_b32 s12, 0x3f200000
	s_mov_b32 s13, 0x3fb8aa3b
	;; [unrolled: 1-line block ×4, first 2 shown]
	v_mov_b32_e32 v48, 0x3ca908c9
	s_brev_b32 s38, -2
	v_mov_b32_e32 v49, 0x7f800000
	v_mov_b32_e32 v0, 0
	s_mov_b64 s[2:3], s[22:23]
	v_mov_b32_e32 v8, 0
	v_mov_b32_e32 v9, v1
	;; [unrolled: 1-line block ×8, first 2 shown]
	s_branch .LBB0_11
.LBB0_10:                               ; %.critedge4
                                        ;   in Loop: Header=BB0_11 Depth=1
	.loc	1 0 41                          ; dyt_aot.py:0:41
	s_or_b64 exec, exec, s[4:5]
	.loc	1 44 41 is_stmt 1               ; dyt_aot.py:44:41
	s_add_u32 s2, s2, s26
	.loc	1 49 18                         ; dyt_aot.py:49:18
	v_pk_add_f32 v[10:11], v[10:11], v[34:35]
	.loc	1 50 14                         ; dyt_aot.py:50:14
	v_pk_fma_f32 v[14:15], v[34:35], v[40:41], v[14:15]
	.loc	1 44 41                         ; dyt_aot.py:44:41
	s_addc_u32 s3, s3, s27
	v_mov_b64_e32 v[34:35], s[24:25]
	v_cmp_lt_i64_e32 vcc, s[2:3], v[34:35]
	.loc	1 52 14                         ; dyt_aot.py:52:14
	s_waitcnt lgkmcnt(0)
	v_add_f32_e32 v0, v0, v50
	.loc	1 49 18                         ; dyt_aot.py:49:18
	v_pk_add_f32 v[8:9], v[8:9], v[36:37]
	.loc	1 50 14                         ; dyt_aot.py:50:14
	v_pk_fma_f32 v[12:13], v[36:37], v[38:39], v[12:13]
	.loc	1 44 41                         ; dyt_aot.py:44:41
	v_lshl_add_u64 v[16:17], v[16:17], 0, s[30:31]
	v_lshl_add_u64 v[18:19], v[18:19], 0, s[30:31]
	;; [unrolled: 1-line block ×9, first 2 shown]
	s_cbranch_vccz .LBB0_52
.LBB0_11:                               ; =>This Inner Loop Header: Depth=1
	.loc	1 45 20                         ; dyt_aot.py:45:20
	v_mov_b32_e32 v51, 0
	.loc	1 45 37 is_stmt 0               ; dyt_aot.py:45:37
	v_lshl_add_u64 v[34:35], v[32:33], 0, s[28:29]
	v_mov_b32_e32 v50, v51
	.loc	1 45 20                         ; dyt_aot.py:45:20
	s_and_saveexec_b64 s[4:5], s[20:21]
	s_cbranch_execz .LBB0_13
; %bb.12:                               ;   in Loop: Header=BB0_11 Depth=1
	global_load_dword v50, v[34:35], off offset:-2048
.LBB0_13:                               ;   in Loop: Header=BB0_11 Depth=1
	.loc	1 0 20                          ; dyt_aot.py:0:20
	s_or_b64 exec, exec, s[4:5]
	.loc	1 45 20                         ; dyt_aot.py:45:20
	s_and_saveexec_b64 s[4:5], s[20:21]
	s_cbranch_execz .LBB0_15
; %bb.14:                               ;   in Loop: Header=BB0_11 Depth=1
	global_load_dword v51, v[34:35], off
.LBB0_15:                               ;   in Loop: Header=BB0_11 Depth=1
	.loc	1 0 20                          ; dyt_aot.py:0:20
	s_or_b64 exec, exec, s[4:5]
	.loc	1 45 20                         ; dyt_aot.py:45:20
	v_mov_b32_e32 v52, 0
	v_mov_b32_e32 v53, v52
	s_and_saveexec_b64 s[4:5], s[20:21]
	s_cbranch_execz .LBB0_17
; %bb.16:                               ;   in Loop: Header=BB0_11 Depth=1
	.loc	1 45 37                         ; dyt_aot.py:45:37
	v_lshl_add_u64 v[34:35], v[20:21], 0, s[28:29]
	.loc	1 45 20                         ; dyt_aot.py:45:20
	global_load_dword v53, v[34:35], off
.LBB0_17:                               ;   in Loop: Header=BB0_11 Depth=1
	.loc	1 0 20                          ; dyt_aot.py:0:20
	s_or_b64 exec, exec, s[4:5]
	.loc	1 45 20                         ; dyt_aot.py:45:20
	s_and_saveexec_b64 s[4:5], s[20:21]
	s_cbranch_execz .LBB0_19
; %bb.18:                               ;   in Loop: Header=BB0_11 Depth=1
	v_lshl_add_u64 v[34:35], v[24:25], 0, s[28:29]
	global_load_dword v52, v[34:35], off
.LBB0_19:                               ;   in Loop: Header=BB0_11 Depth=1
	.loc	1 0 20                          ; dyt_aot.py:0:20
	s_or_b64 exec, exec, s[4:5]
	.loc	1 46 21 is_stmt 1               ; dyt_aot.py:46:21
	v_mov_b32_e32 v35, 0
	.loc	1 46 39 is_stmt 0               ; dyt_aot.py:46:39
	v_lshl_add_u64 v[36:37], v[26:27], 0, s[28:29]
	v_mov_b32_e32 v34, v35
	.loc	1 46 21                         ; dyt_aot.py:46:21
	s_and_saveexec_b64 s[4:5], s[20:21]
	s_cbranch_execz .LBB0_21
; %bb.20:                               ;   in Loop: Header=BB0_11 Depth=1
	global_load_dword v34, v[36:37], off offset:-2048
.LBB0_21:                               ;   in Loop: Header=BB0_11 Depth=1
	.loc	1 0 21                          ; dyt_aot.py:0:21
	s_or_b64 exec, exec, s[4:5]
	.loc	1 46 21                         ; dyt_aot.py:46:21
	s_and_saveexec_b64 s[4:5], s[20:21]
	s_cbranch_execz .LBB0_23
; %bb.22:                               ;   in Loop: Header=BB0_11 Depth=1
	global_load_dword v35, v[36:37], off
.LBB0_23:                               ;   in Loop: Header=BB0_11 Depth=1
	.loc	1 0 21                          ; dyt_aot.py:0:21
	s_or_b64 exec, exec, s[4:5]
	.loc	1 46 21                         ; dyt_aot.py:46:21
	v_mov_b32_e32 v37, 0
	v_mov_b32_e32 v36, v37
	s_and_saveexec_b64 s[4:5], s[20:21]
	s_cbranch_execz .LBB0_25
; %bb.24:                               ;   in Loop: Header=BB0_11 Depth=1
	.loc	1 46 39                         ; dyt_aot.py:46:39
	v_lshl_add_u64 v[38:39], v[30:31], 0, s[28:29]
	.loc	1 46 21                         ; dyt_aot.py:46:21
	global_load_dword v36, v[38:39], off
.LBB0_25:                               ;   in Loop: Header=BB0_11 Depth=1
	.loc	1 0 21                          ; dyt_aot.py:0:21
	s_or_b64 exec, exec, s[4:5]
	.loc	1 46 21                         ; dyt_aot.py:46:21
	s_and_saveexec_b64 s[4:5], s[20:21]
	s_cbranch_execz .LBB0_27
; %bb.26:                               ;   in Loop: Header=BB0_11 Depth=1
	v_lshl_add_u64 v[38:39], v[28:29], 0, s[28:29]
	global_load_dword v37, v[38:39], off
.LBB0_27:                               ;   in Loop: Header=BB0_11 Depth=1
	.loc	1 0 21                          ; dyt_aot.py:0:21
	s_or_b64 exec, exec, s[4:5]
	.loc	1 47 30 is_stmt 1               ; dyt_aot.py:47:30
	s_waitcnt vmcnt(0)
	v_mul_f32_e32 v39, s34, v50
	.loc	1 47 22 is_stmt 0               ; dyt_aot.py:47:22
	v_cmp_nlt_f32_e64 s[4:5], |v39|, s12
                                        ; implicit-def: $vgpr40
	s_and_saveexec_b64 s[40:41], s[4:5]
	s_xor_b64 s[4:5], exec, s[40:41]
	s_cbranch_execz .LBB0_29
; %bb.28:                               ;   in Loop: Header=BB0_11 Depth=1
	v_add_f32_e64 v38, |v39|, |v39|
	v_mul_f32_e32 v40, 0x3fb8aa3b, v38
	v_fma_f32 v41, v38, s13, -v40
	v_rndne_f32_e32 v40, v40
	v_fmac_f32_e32 v41, 0x32a5705f, v38
	v_fma_f32 v54, v38, s13, -v40
	v_add_f32_e32 v41, v54, v41
	v_cvt_i32_f32_e32 v40, v40
	v_exp_f32_e32 v41, v41
	v_cmp_ngt_f32_e32 vcc, s36, v38
	v_ldexp_f32 v40, v41, v40
	s_nop 0
	v_cndmask_b32_e32 v40, 0, v40, vcc
	v_cmp_nlt_f32_e32 vcc, s37, v38
	s_nop 1
	v_cndmask_b32_e32 v38, v49, v40, vcc
	v_add_f32_e32 v38, 1.0, v38
	v_rcp_f32_e32 v38, v38
	s_nop 0
	v_fma_f32 v40, v38, -2.0, 1.0
.LBB0_29:                               ; %Flow80
                                        ;   in Loop: Header=BB0_11 Depth=1
	.loc	1 0 22                          ; dyt_aot.py:0:22
	s_andn2_saveexec_b64 s[4:5], s[4:5]
; %bb.30:                               ;   in Loop: Header=BB0_11 Depth=1
	.loc	1 47 22 is_stmt 1               ; dyt_aot.py:47:22
	v_mul_f32_e32 v38, v39, v39
	v_fmamk_f32 v40, v38, 0xbbbac73d, v48
	v_fmaak_f32 v40, v38, v40, 0xbd5c1c4e
	v_fmaak_f32 v40, v38, v40, 0x3e088382
	;; [unrolled: 1-line block ×3, first 2 shown]
	v_mul_f32_e64 v40, |v39|, v40
	v_fma_f32 v40, v38, v40, |v39|
; %bb.31:                               ; %__ocml_tanh_f32.exit
                                        ;   in Loop: Header=BB0_11 Depth=1
	.loc	1 0 22 is_stmt 0                ; dyt_aot.py:0:22
	s_or_b64 exec, exec, s[4:5]
	.loc	1 47 30                         ; dyt_aot.py:47:30
	v_mul_f32_e32 v41, s34, v51
	.loc	1 47 22                         ; dyt_aot.py:47:22
	v_cmp_nlt_f32_e64 s[4:5], |v41|, s12
                                        ; implicit-def: $vgpr54
	s_and_saveexec_b64 s[40:41], s[4:5]
	s_xor_b64 s[4:5], exec, s[40:41]
	s_cbranch_execz .LBB0_33
; %bb.32:                               ;   in Loop: Header=BB0_11 Depth=1
	v_add_f32_e64 v38, |v41|, |v41|
	v_mul_f32_e32 v54, 0x3fb8aa3b, v38
	v_fma_f32 v55, v38, s13, -v54
	v_rndne_f32_e32 v54, v54
	v_fmac_f32_e32 v55, 0x32a5705f, v38
	v_fma_f32 v56, v38, s13, -v54
	v_add_f32_e32 v55, v56, v55
	v_cvt_i32_f32_e32 v54, v54
	v_exp_f32_e32 v55, v55
	v_cmp_ngt_f32_e32 vcc, s36, v38
	v_ldexp_f32 v54, v55, v54
	s_nop 0
	v_cndmask_b32_e32 v54, 0, v54, vcc
	v_cmp_nlt_f32_e32 vcc, s37, v38
	s_nop 1
	v_cndmask_b32_e32 v38, v49, v54, vcc
	v_add_f32_e32 v38, 1.0, v38
	v_rcp_f32_e32 v38, v38
	s_nop 0
	v_fma_f32 v54, v38, -2.0, 1.0
.LBB0_33:                               ; %Flow79
                                        ;   in Loop: Header=BB0_11 Depth=1
	.loc	1 0 22                          ; dyt_aot.py:0:22
	s_andn2_saveexec_b64 s[4:5], s[4:5]
; %bb.34:                               ;   in Loop: Header=BB0_11 Depth=1
	.loc	1 47 22 is_stmt 1               ; dyt_aot.py:47:22
	v_mul_f32_e32 v38, v41, v41
	v_fmamk_f32 v54, v38, 0xbbbac73d, v48
	v_fmaak_f32 v54, v38, v54, 0xbd5c1c4e
	v_fmaak_f32 v54, v38, v54, 0x3e088382
	;; [unrolled: 1-line block ×3, first 2 shown]
	v_mul_f32_e64 v54, |v41|, v54
	v_fma_f32 v54, v38, v54, |v41|
; %bb.35:                               ; %__ocml_tanh_f32.exit17
                                        ;   in Loop: Header=BB0_11 Depth=1
	.loc	1 0 22 is_stmt 0                ; dyt_aot.py:0:22
	s_or_b64 exec, exec, s[4:5]
	.loc	1 47 30                         ; dyt_aot.py:47:30
	v_mul_f32_e32 v38, s34, v53
	.loc	1 47 22                         ; dyt_aot.py:47:22
	v_cmp_nlt_f32_e64 s[4:5], |v38|, s12
                                        ; implicit-def: $vgpr55
	s_and_saveexec_b64 s[40:41], s[4:5]
	s_xor_b64 s[4:5], exec, s[40:41]
	s_cbranch_execz .LBB0_37
; %bb.36:                               ;   in Loop: Header=BB0_11 Depth=1
	v_add_f32_e64 v55, |v38|, |v38|
	v_mul_f32_e32 v56, 0x3fb8aa3b, v55
	v_fma_f32 v57, v55, s13, -v56
	v_rndne_f32_e32 v56, v56
	v_fmac_f32_e32 v57, 0x32a5705f, v55
	v_fma_f32 v58, v55, s13, -v56
	v_add_f32_e32 v57, v58, v57
	v_cvt_i32_f32_e32 v56, v56
	v_exp_f32_e32 v57, v57
	v_cmp_ngt_f32_e32 vcc, s36, v55
	v_ldexp_f32 v56, v57, v56
	s_nop 0
	v_cndmask_b32_e32 v56, 0, v56, vcc
	v_cmp_nlt_f32_e32 vcc, s37, v55
	s_nop 1
	v_cndmask_b32_e32 v55, v49, v56, vcc
	v_add_f32_e32 v55, 1.0, v55
	v_rcp_f32_e32 v55, v55
	s_nop 0
	v_fma_f32 v55, v55, -2.0, 1.0
.LBB0_37:                               ; %Flow78
                                        ;   in Loop: Header=BB0_11 Depth=1
	.loc	1 0 22                          ; dyt_aot.py:0:22
	s_andn2_saveexec_b64 s[4:5], s[4:5]
; %bb.38:                               ;   in Loop: Header=BB0_11 Depth=1
	.loc	1 47 22 is_stmt 1               ; dyt_aot.py:47:22
	v_mul_f32_e32 v55, v38, v38
	v_fmamk_f32 v56, v55, 0xbbbac73d, v48
	v_fmaak_f32 v56, v55, v56, 0xbd5c1c4e
	v_fmaak_f32 v56, v55, v56, 0x3e088382
	;; [unrolled: 1-line block ×3, first 2 shown]
	v_mul_f32_e64 v56, |v38|, v56
	v_fma_f32 v55, v55, v56, |v38|
; %bb.39:                               ; %__ocml_tanh_f32.exit18
                                        ;   in Loop: Header=BB0_11 Depth=1
	.loc	1 0 22 is_stmt 0                ; dyt_aot.py:0:22
	s_or_b64 exec, exec, s[4:5]
	.loc	1 47 30                         ; dyt_aot.py:47:30
	v_mul_f32_e32 v56, s34, v52
	.loc	1 47 22                         ; dyt_aot.py:47:22
	v_cmp_nlt_f32_e64 s[4:5], |v56|, s12
                                        ; implicit-def: $vgpr57
	s_and_saveexec_b64 s[40:41], s[4:5]
	s_xor_b64 s[4:5], exec, s[40:41]
	s_cbranch_execz .LBB0_41
; %bb.40:                               ;   in Loop: Header=BB0_11 Depth=1
	v_add_f32_e64 v57, |v56|, |v56|
	v_mul_f32_e32 v58, 0x3fb8aa3b, v57
	v_fma_f32 v59, v57, s13, -v58
	v_rndne_f32_e32 v58, v58
	v_fmac_f32_e32 v59, 0x32a5705f, v57
	v_fma_f32 v60, v57, s13, -v58
	v_add_f32_e32 v59, v60, v59
	v_cvt_i32_f32_e32 v58, v58
	v_exp_f32_e32 v59, v59
	v_cmp_ngt_f32_e32 vcc, s36, v57
	v_ldexp_f32 v58, v59, v58
	s_nop 0
	v_cndmask_b32_e32 v58, 0, v58, vcc
	v_cmp_nlt_f32_e32 vcc, s37, v57
	s_nop 1
	v_cndmask_b32_e32 v57, v49, v58, vcc
	v_add_f32_e32 v57, 1.0, v57
	v_rcp_f32_e32 v57, v57
	s_nop 0
	v_fma_f32 v57, v57, -2.0, 1.0
.LBB0_41:                               ; %Flow
                                        ;   in Loop: Header=BB0_11 Depth=1
	.loc	1 0 22                          ; dyt_aot.py:0:22
	s_andn2_saveexec_b64 s[4:5], s[4:5]
; %bb.42:                               ;   in Loop: Header=BB0_11 Depth=1
	.loc	1 47 22 is_stmt 1               ; dyt_aot.py:47:22
	v_mul_f32_e32 v57, v56, v56
	v_fmamk_f32 v58, v57, 0xbbbac73d, v48
	v_fmaak_f32 v58, v57, v58, 0xbd5c1c4e
	v_fmaak_f32 v58, v57, v58, 0x3e088382
	;; [unrolled: 1-line block ×3, first 2 shown]
	v_mul_f32_e64 v58, |v56|, v58
	v_fma_f32 v57, v57, v58, |v56|
; %bb.43:                               ; %__ocml_tanh_f32.exit19
                                        ;   in Loop: Header=BB0_11 Depth=1
	.loc	1 0 22 is_stmt 0                ; dyt_aot.py:0:22
	s_or_b64 exec, exec, s[4:5]
	.loc	1 47 22                         ; dyt_aot.py:47:22
	v_bfi_b32 v41, s38, v54, v41
	v_bfi_b32 v38, s38, v55, v38
	;; [unrolled: 1-line block ×3, first 2 shown]
	.loc	1 51 19 is_stmt 1               ; dyt_aot.py:51:19
	v_fma_f32 v55, -v41, v41, 1.0
	v_fma_f32 v54, -v40, v40, 1.0
	.loc	1 51 38 is_stmt 0               ; dyt_aot.py:51:38
	v_mul_f32_e32 v55, v35, v55
	.loc	1 47 22 is_stmt 1               ; dyt_aot.py:47:22
	v_bfi_b32 v39, s38, v57, v56
	.loc	1 51 19                         ; dyt_aot.py:51:19
	v_fma_f32 v56, -v38, v38, 1.0
	.loc	1 51 38 is_stmt 0               ; dyt_aot.py:51:38
	v_mul_f32_e32 v54, v34, v54
	.loc	1 51 43                         ; dyt_aot.py:51:43
	v_mul_f32_e32 v55, v43, v55
	.loc	1 51 19                         ; dyt_aot.py:51:19
	v_fma_f32 v57, -v39, v39, 1.0
	.loc	1 51 38                         ; dyt_aot.py:51:38
	v_mul_f32_e32 v56, v36, v56
	.loc	1 51 43                         ; dyt_aot.py:51:43
	v_mul_f32_e32 v54, v44, v54
	.loc	1 52 25 is_stmt 1               ; dyt_aot.py:52:25
	v_mul_f32_e32 v51, v51, v55
	.loc	1 51 38                         ; dyt_aot.py:51:38
	v_mul_f32_e32 v57, v37, v57
	.loc	1 51 43 is_stmt 0               ; dyt_aot.py:51:43
	v_mul_f32_e32 v56, v46, v56
.Ltmp2:
	.file	2 "/root/.local/lib/python3.13/site-packages/triton/language" "standard.py"
	.loc	2 263 15 is_stmt 1              ; standard.py:263:15 @[ standard.py:293:36 @[ dyt_aot.py:52:30 ] ]
	v_fmac_f32_e32 v51, v50, v54
.Ltmp3:
	.loc	1 51 43                         ; dyt_aot.py:51:43
	v_mul_f32_e32 v57, v45, v57
.Ltmp4:
	.loc	2 263 15                        ; standard.py:263:15 @[ standard.py:293:36 @[ dyt_aot.py:52:30 ] ]
	v_fmac_f32_e32 v51, v53, v56
	v_fmac_f32_e32 v51, v52, v57
.Ltmp5:
	.loc	2 293 36                        ; standard.py:293:36 @[ dyt_aot.py:52:30 ]
	s_waitcnt lgkmcnt(0)
	s_barrier
.Ltmp6:
	.loc	2 263 15                        ; standard.py:263:15 @[ standard.py:293:36 @[ dyt_aot.py:52:30 ] ]
	v_add_f32_dpp v50, v51, v51 row_shr:8 row_mask:0xf bank_mask:0xf bound_ctrl:1
	s_nop 1
	v_add_f32_dpp v50, v50, v50 row_shr:4 row_mask:0xf bank_mask:0xf bound_ctrl:1
	s_nop 1
	;; [unrolled: 2-line block ×3, first 2 shown]
	v_add_f32_dpp v50, v50, v50 row_shr:1 row_mask:0xf bank_mask:0xf bound_ctrl:1
.Ltmp7:
	.loc	2 293 36                        ; standard.py:293:36 @[ dyt_aot.py:52:30 ]
	v_mov_b32_e32 v51, v50
	s_nop 1
	v_mov_b32_dpp v51, v51 row_bcast:15 row_mask:0xa bank_mask:0xf bound_ctrl:1
.Ltmp8:
	.loc	2 263 15                        ; standard.py:263:15 @[ standard.py:293:36 @[ dyt_aot.py:52:30 ] ]
	v_add_f32_e32 v50, v51, v50
	s_nop 1
	v_add_f32_dpp v50, v50, v50 row_bcast:31 row_mask:0xf bank_mask:0xf bound_ctrl:1
.Ltmp9:
	.loc	2 293 36                        ; standard.py:293:36 @[ dyt_aot.py:52:30 ]
	s_nop 0
	v_readlane_b32 s39, v50, 63
	s_and_saveexec_b64 s[4:5], s[14:15]
; %bb.44:                               ;   in Loop: Header=BB0_11 Depth=1
	v_mov_b32_e32 v50, s35
	v_mov_b32_e32 v51, s39
	ds_write_b32 v50, v51
.Ltmp10:
; %bb.45:                               ;   in Loop: Header=BB0_11 Depth=1
	.loc	2 0 36 is_stmt 0                ; standard.py:0:36
	s_or_b64 exec, exec, s[4:5]
	.loc	1 52 30 is_stmt 1               ; dyt_aot.py:52:30
	v_mov_b32_e32 v50, 0
.Ltmp11:
	.loc	2 293 36                        ; standard.py:293:36 @[ dyt_aot.py:52:30 ]
	s_waitcnt lgkmcnt(0)
	s_barrier
	s_and_saveexec_b64 s[4:5], s[18:19]
; %bb.46:                               ;   in Loop: Header=BB0_11 Depth=1
	ds_read_b32 v50, v47
; %bb.47:                               ;   in Loop: Header=BB0_11 Depth=1
	.loc	2 0 36 is_stmt 0                ; standard.py:0:36
	s_or_b64 exec, exec, s[4:5]
	.loc	2 293 36                        ; standard.py:293:36 @[ dyt_aot.py:52:30 ]
	s_waitcnt lgkmcnt(0)
	v_mov_b32_e32 v51, v50
	s_nop 1
	v_mov_b32_dpp v51, v51 row_shr:4 row_mask:0xf bank_mask:0xa
	s_nop 1
	v_mov_b32_dpp v51, v50 row_shl:4 row_mask:0xf bank_mask:0x5
.Ltmp12:
	.loc	2 263 15 is_stmt 1              ; standard.py:263:15 @[ standard.py:293:36 @[ dyt_aot.py:52:30 ] ]
	v_add_f32_e32 v50, v50, v51
.Ltmp13:
	.loc	2 293 36                        ; standard.py:293:36 @[ dyt_aot.py:52:30 ]
	v_mov_b32_e32 v51, v50
	s_nop 1
	v_mov_b32_dpp v51, v51 quad_perm:[2,3,0,1] row_mask:0xf bank_mask:0xf
.Ltmp14:
	.loc	2 263 15                        ; standard.py:263:15 @[ standard.py:293:36 @[ dyt_aot.py:52:30 ] ]
	v_add_f32_e32 v50, v50, v51
.Ltmp15:
	.loc	2 293 36                        ; standard.py:293:36 @[ dyt_aot.py:52:30 ]
	v_mov_b32_e32 v51, v50
	s_nop 1
	v_mov_b32_dpp v51, v51 quad_perm:[1,0,3,2] row_mask:0xf bank_mask:0xf
	s_and_saveexec_b64 s[4:5], s[0:1]
; %bb.48:                               ;   in Loop: Header=BB0_11 Depth=1
	.loc	2 0 36 is_stmt 0                ; standard.py:0:36
	v_add_f32_e32 v50, v50, v51
	.loc	2 293 36                        ; standard.py:293:36 @[ dyt_aot.py:52:30 ]
	ds_write_b32 v47, v50
; %bb.49:                               ;   in Loop: Header=BB0_11 Depth=1
	.loc	2 0 36                          ; standard.py:0:36
	s_or_b64 exec, exec, s[4:5]
	.loc	2 293 36                        ; standard.py:293:36 @[ dyt_aot.py:52:30 ]
	s_waitcnt lgkmcnt(0)
	s_barrier
	ds_read_b32 v50, v1
.Ltmp16:
	.loc	1 54 40 is_stmt 1               ; dyt_aot.py:54:40
	s_and_saveexec_b64 s[4:5], s[20:21]
	s_cbranch_execz .LBB0_10
; %bb.50:                               ; %.critedge
                                        ;   in Loop: Header=BB0_11 Depth=1
	.loc	1 0 40 is_stmt 0                ; dyt_aot.py:0:40
	v_lshl_add_u64 v[52:53], v[22:23], 0, s[28:29]
	v_mul_f32_e32 v60, s34, v54
	.loc	1 53 21 is_stmt 1               ; dyt_aot.py:53:21
	v_mul_f32_e32 v51, s34, v57
	v_mul_f32_e32 v58, s34, v56
	;; [unrolled: 1-line block ×3, first 2 shown]
	.loc	1 54 35                         ; dyt_aot.py:54:35
	v_lshl_add_u64 v[54:55], v[18:19], 0, s[28:29]
	.loc	1 54 40 is_stmt 0               ; dyt_aot.py:54:40
	v_lshl_add_u64 v[56:57], v[16:17], 0, s[28:29]
	global_store_dword v[52:53], v60, off
	global_store_dword v[52:53], v59, off offset:2048
	global_store_dword v[56:57], v58, off
	global_store_dword v[54:55], v51, off
	s_branch .LBB0_10
.LBB0_51:
	.loc	1 0 40                          ; dyt_aot.py:0:40
	v_mov_b32_e32 v0, 0
.LBB0_52:                               ; %._crit_edge
	.loc	1 56 42 is_stmt 1               ; dyt_aot.py:56:42
	s_and_saveexec_b64 s[0:1], s[20:21]
	s_cbranch_execz .LBB0_54
; %bb.53:                               ; %.critedge6
	.loc	1 56 18 is_stmt 0               ; dyt_aot.py:56:18
	s_lshl_b64 s[2:3], s[22:23], 13
	s_add_u32 s4, s8, s2
	s_addc_u32 s5, s9, s3
	.loc	1 58 22 is_stmt 1               ; dyt_aot.py:58:22
	s_add_u32 s2, s10, s2
	.loc	1 56 37                         ; dyt_aot.py:56:37
	v_lshlrev_b64 v[2:3], 2, v[2:3]
	.loc	1 58 22                         ; dyt_aot.py:58:22
	s_addc_u32 s3, s11, s3
	.loc	1 56 37                         ; dyt_aot.py:56:37
	v_lshlrev_b64 v[6:7], 2, v[6:7]
	v_lshlrev_b64 v[4:5], 2, v[4:5]
	v_lshl_add_u64 v[20:21], s[4:5], 0, v[2:3]
	.loc	1 58 41                         ; dyt_aot.py:58:41
	v_lshl_add_u64 v[2:3], s[2:3], 0, v[2:3]
	.loc	1 56 37                         ; dyt_aot.py:56:37
	v_lshl_add_u64 v[16:17], s[4:5], 0, v[6:7]
	v_lshl_add_u64 v[18:19], s[4:5], 0, v[4:5]
	.loc	1 56 42 is_stmt 0               ; dyt_aot.py:56:42
	global_store_dword v[20:21], v14, off
	global_store_dword v[20:21], v15, off offset:2048
	global_store_dword v[18:19], v12, off
	global_store_dword v[16:17], v13, off
	.loc	1 58 41 is_stmt 1               ; dyt_aot.py:58:41
	v_lshl_add_u64 v[4:5], s[2:3], 0, v[4:5]
	v_lshl_add_u64 v[6:7], s[2:3], 0, v[6:7]
	.loc	1 58 46 is_stmt 0               ; dyt_aot.py:58:46
	global_store_dword v[2:3], v10, off
	global_store_dword v[2:3], v11, off offset:2048
	global_store_dword v[4:5], v8, off
	global_store_dword v[6:7], v9, off
.LBB0_54:                               ; %.critedge16
	.loc	1 0 46                          ; dyt_aot.py:0:46
	s_or_b64 exec, exec, s[0:1]
	.loc	1 59 69 is_stmt 1               ; dyt_aot.py:59:69
	s_lshr_b32 s0, s33, 6
	v_or_b32_e32 v1, s0, v42
	v_cmp_eq_u32_e32 vcc, 0, v1
	s_and_saveexec_b64 s[0:1], vcc
	s_cbranch_execz .LBB0_56
; %bb.55:
	.loc	1 0 69 is_stmt 0                ; dyt_aot.py:0:69
	s_lshl_b64 s[0:1], s[22:23], 4
	s_add_u32 s2, s6, s0
	s_addc_u32 s3, s7, s1
	s_lshl_b64 s[0:1], s[16:17], 2
	s_add_u32 s0, s2, s0
	s_addc_u32 s1, s3, s1
	v_mov_b32_e32 v1, 0
	.loc	1 59 69                         ; dyt_aot.py:59:69
	global_store_dword v1, v0, s[0:1]
.LBB0_56:
	.loc	1 59 4                          ; dyt_aot.py:59:4
	s_endpgm
.Ltmp17:
	.section	.rodata,"a",@progbits
	.p2align	6, 0x0
	.amdhsa_kernel _dyt_bwd_kernel
		.amdhsa_group_segment_fixed_size 0
		.amdhsa_private_segment_fixed_size 0
		.amdhsa_kernarg_size 344
		.amdhsa_user_sgpr_count 16
		.amdhsa_user_sgpr_dispatch_ptr 0
		.amdhsa_user_sgpr_queue_ptr 0
		.amdhsa_user_sgpr_kernarg_segment_ptr 1
		.amdhsa_user_sgpr_dispatch_id 0
		.amdhsa_user_sgpr_kernarg_preload_length 14
		.amdhsa_user_sgpr_kernarg_preload_offset 0
		.amdhsa_user_sgpr_private_segment_size 0
		.amdhsa_uses_dynamic_stack 0
		.amdhsa_enable_private_segment 0
		.amdhsa_system_sgpr_workgroup_id_x 1
		.amdhsa_system_sgpr_workgroup_id_y 1
		.amdhsa_system_sgpr_workgroup_id_z 0
		.amdhsa_system_sgpr_workgroup_info 0
		.amdhsa_system_vgpr_workitem_id 0
		.amdhsa_next_free_vgpr 61
		.amdhsa_next_free_sgpr 42
		.amdhsa_accum_offset 64
		.amdhsa_reserve_vcc 1
		.amdhsa_reserve_xnack_mask 1
		.amdhsa_float_round_mode_32 0
		.amdhsa_float_round_mode_16_64 0
		.amdhsa_float_denorm_mode_32 3
		.amdhsa_float_denorm_mode_16_64 3
		.amdhsa_dx10_clamp 1
		.amdhsa_ieee_mode 1
		.amdhsa_fp16_overflow 0
		.amdhsa_tg_split 0
		.amdhsa_exception_fp_ieee_invalid_op 0
		.amdhsa_exception_fp_denorm_src 0
		.amdhsa_exception_fp_ieee_div_zero 0
		.amdhsa_exception_fp_ieee_overflow 0
		.amdhsa_exception_fp_ieee_underflow 0
		.amdhsa_exception_fp_ieee_inexact 0
		.amdhsa_exception_int_div_zero 0
	.end_amdhsa_kernel
	.text
.Lfunc_end0:
	.size	_dyt_bwd_kernel, .Lfunc_end0-_dyt_bwd_kernel
	.cfi_endproc
                                        ; -- End function
	.set _dyt_bwd_kernel.num_vgpr, 61
	.set _dyt_bwd_kernel.num_agpr, 0
	.set _dyt_bwd_kernel.numbered_sgpr, 42
	.set _dyt_bwd_kernel.num_named_barrier, 0
	.set _dyt_bwd_kernel.private_seg_size, 0
	.set _dyt_bwd_kernel.uses_vcc, 1
	.set _dyt_bwd_kernel.uses_flat_scratch, 0
	.set _dyt_bwd_kernel.has_dyn_sized_stack, 0
	.set _dyt_bwd_kernel.has_recursion, 0
	.set _dyt_bwd_kernel.has_indirect_call, 0
	.section	.AMDGPU.csdata,"",@progbits
; Kernel info:
; codeLenInByte = 2676
; TotalNumSgprs: 48
; NumVgprs: 61
; NumAgprs: 0
; TotalNumVgprs: 61
; ScratchSize: 0
; MemoryBound: 0
; FloatMode: 240
; IeeeMode: 1
; LDSByteSize: 0 bytes/workgroup (compile time only)
; SGPRBlocks: 5
; VGPRBlocks: 7
; NumSGPRsForWavesPerEU: 48
; NumVGPRsForWavesPerEU: 61
; AccumOffset: 64
; Occupancy: 8
; WaveLimiterHint : 1
; COMPUTE_PGM_RSRC2:SCRATCH_EN: 0
; COMPUTE_PGM_RSRC2:USER_SGPR: 16
; COMPUTE_PGM_RSRC2:TRAP_HANDLER: 0
; COMPUTE_PGM_RSRC2:TGID_X_EN: 1
; COMPUTE_PGM_RSRC2:TGID_Y_EN: 1
; COMPUTE_PGM_RSRC2:TGID_Z_EN: 0
; COMPUTE_PGM_RSRC2:TIDIG_COMP_CNT: 0
; COMPUTE_PGM_RSRC3_GFX90A:ACCUM_OFFSET: 15
; COMPUTE_PGM_RSRC3_GFX90A:TG_SPLIT: 0
	.text
	.p2alignl 6, 3212836864
	.fill 256, 4, 3212836864
	.section	.AMDGPU.gpr_maximums,"",@progbits
	.set amdgpu.max_num_vgpr, 0
	.set amdgpu.max_num_agpr, 0
	.set amdgpu.max_num_sgpr, 0
	.set amdgpu.max_num_named_barrier, 0
	.text
	.section	.debug_abbrev,"",@progbits
	.byte	1                               ; Abbreviation Code
	.byte	17                              ; DW_TAG_compile_unit
	.byte	1                               ; DW_CHILDREN_yes
	.byte	37                              ; DW_AT_producer
	.byte	14                              ; DW_FORM_strp
	.byte	19                              ; DW_AT_language
	.byte	5                               ; DW_FORM_data2
	.byte	3                               ; DW_AT_name
	.byte	14                              ; DW_FORM_strp
	.byte	16                              ; DW_AT_stmt_list
	.byte	23                              ; DW_FORM_sec_offset
	.byte	27                              ; DW_AT_comp_dir
	.byte	14                              ; DW_FORM_strp
	.byte	17                              ; DW_AT_low_pc
	.byte	1                               ; DW_FORM_addr
	.byte	18                              ; DW_AT_high_pc
	.byte	6                               ; DW_FORM_data4
	.byte	0                               ; EOM(1)
	.byte	0                               ; EOM(2)
	.byte	2                               ; Abbreviation Code
	.byte	46                              ; DW_TAG_subprogram
	.byte	0                               ; DW_CHILDREN_no
	.byte	3                               ; DW_AT_name
	.byte	14                              ; DW_FORM_strp
	.byte	32                              ; DW_AT_inline
	.byte	11                              ; DW_FORM_data1
	.byte	0                               ; EOM(1)
	.byte	0                               ; EOM(2)
	.byte	3                               ; Abbreviation Code
	.byte	46                              ; DW_TAG_subprogram
	.byte	1                               ; DW_CHILDREN_yes
	.byte	17                              ; DW_AT_low_pc
	.byte	1                               ; DW_FORM_addr
	.byte	18                              ; DW_AT_high_pc
	.byte	6                               ; DW_FORM_data4
	.byte	49                              ; DW_AT_abstract_origin
	.byte	19                              ; DW_FORM_ref4
	.byte	0                               ; EOM(1)
	.byte	0                               ; EOM(2)
	.byte	4                               ; Abbreviation Code
	.byte	29                              ; DW_TAG_inlined_subroutine
	.byte	1                               ; DW_CHILDREN_yes
	.byte	49                              ; DW_AT_abstract_origin
	.byte	19                              ; DW_FORM_ref4
	.byte	85                              ; DW_AT_ranges
	.byte	23                              ; DW_FORM_sec_offset
	.byte	88                              ; DW_AT_call_file
	.byte	11                              ; DW_FORM_data1
	.byte	89                              ; DW_AT_call_line
	.byte	11                              ; DW_FORM_data1
	.byte	87                              ; DW_AT_call_column
	.byte	11                              ; DW_FORM_data1
	.byte	0                               ; EOM(1)
	.byte	0                               ; EOM(2)
	.byte	5                               ; Abbreviation Code
	.byte	29                              ; DW_TAG_inlined_subroutine
	.byte	0                               ; DW_CHILDREN_no
	.byte	49                              ; DW_AT_abstract_origin
	.byte	19                              ; DW_FORM_ref4
	.byte	85                              ; DW_AT_ranges
	.byte	23                              ; DW_FORM_sec_offset
	.byte	88                              ; DW_AT_call_file
	.byte	11                              ; DW_FORM_data1
	.byte	89                              ; DW_AT_call_line
	.byte	5                               ; DW_FORM_data2
	.byte	87                              ; DW_AT_call_column
	.byte	11                              ; DW_FORM_data1
	.byte	0                               ; EOM(1)
	.byte	0                               ; EOM(2)
	;; [unrolled: 1-line block ×3, first 2 shown]
	.section	.debug_info,"",@progbits
.Lcu_begin0:
	.long	.Ldebug_info_end0-.Ldebug_info_start0 ; Length of Unit
.Ldebug_info_start0:
	.short	4                               ; DWARF version number
	.long	.debug_abbrev                   ; Offset Into Abbrev. Section
	.byte	8                               ; Address Size (in bytes)
	.byte	1                               ; Abbrev [1] 0xb:0x52 DW_TAG_compile_unit
	.long	.Linfo_string0                  ; DW_AT_producer
	.short	2                               ; DW_AT_language
	.long	.Linfo_string1                  ; DW_AT_name
	.long	.Lline_table_start0             ; DW_AT_stmt_list
	.long	.Linfo_string2                  ; DW_AT_comp_dir
	.quad	.Lfunc_begin0                   ; DW_AT_low_pc
	.long	.Lfunc_end0-.Lfunc_begin0       ; DW_AT_high_pc
	.byte	2                               ; Abbrev [2] 0x2a:0x6 DW_TAG_subprogram
	.long	.Linfo_string3                  ; DW_AT_name
	.byte	1                               ; DW_AT_inline
	.byte	3                               ; Abbrev [3] 0x30:0x2c DW_TAG_subprogram
	.quad	.Lfunc_begin0                   ; DW_AT_low_pc
	.long	.Lfunc_end0-.Lfunc_begin0       ; DW_AT_high_pc
	.long	42                              ; DW_AT_abstract_origin
	.byte	4                               ; Abbrev [4] 0x41:0x1a DW_TAG_inlined_subroutine
	.long	42                              ; DW_AT_abstract_origin
	.long	.Ldebug_ranges0                 ; DW_AT_ranges
	.byte	1                               ; DW_AT_call_file
	.byte	52                              ; DW_AT_call_line
	.byte	30                              ; DW_AT_call_column
	.byte	5                               ; Abbrev [5] 0x4d:0xd DW_TAG_inlined_subroutine
	.long	42                              ; DW_AT_abstract_origin
	.long	.Ldebug_ranges1                 ; DW_AT_ranges
	.byte	2                               ; DW_AT_call_file
	.short	293                             ; DW_AT_call_line
	.byte	36                              ; DW_AT_call_column
	.byte	0                               ; End Of Children Mark
	.byte	0                               ; End Of Children Mark
	;; [unrolled: 1-line block ×3, first 2 shown]
.Ldebug_info_end0:
	.section	.debug_ranges,"",@progbits
.Ldebug_ranges0:
	.quad	.Ltmp2-.Lfunc_begin0
	.quad	.Ltmp3-.Lfunc_begin0
	;; [unrolled: 1-line block ×6, first 2 shown]
	.quad	0
	.quad	0
.Ldebug_ranges1:
	.quad	.Ltmp2-.Lfunc_begin0
	.quad	.Ltmp3-.Lfunc_begin0
	.quad	.Ltmp4-.Lfunc_begin0
	.quad	.Ltmp5-.Lfunc_begin0
	.quad	.Ltmp6-.Lfunc_begin0
	.quad	.Ltmp7-.Lfunc_begin0
	.quad	.Ltmp8-.Lfunc_begin0
	.quad	.Ltmp9-.Lfunc_begin0
	.quad	.Ltmp12-.Lfunc_begin0
	.quad	.Ltmp13-.Lfunc_begin0
	.quad	.Ltmp14-.Lfunc_begin0
	.quad	.Ltmp15-.Lfunc_begin0
	.quad	0
	.quad	0
	.section	.debug_str,"MS",@progbits,1
.Linfo_string0:
	.asciz	"triton"                        ; string offset=0
.Linfo_string1:
	.asciz	"dyt_aot.py"                    ; string offset=7
.Linfo_string2:
	.asciz	"/root/src/amdgpu-assembly/repos/linkedin__Liger-Kernel/triton_aot_kernels" ; string offset=18
.Linfo_string3:
	.asciz	"_dyt_bwd_kernel"               ; string offset=92
	.section	".note.GNU-stack","",@progbits
	.amdgpu_metadata
---
amdhsa.kernels:
  - .agpr_count:     0
    .args:
      - .address_space:  global
        .offset:         0
        .size:           8
        .value_kind:     global_buffer
      - .address_space:  global
        .offset:         8
        .size:           8
        .value_kind:     global_buffer
      - .address_space:  global
        .offset:         16
        .size:           8
        .value_kind:     global_buffer
      - .address_space:  global
        .offset:         24
        .size:           8
        .value_kind:     global_buffer
      - .address_space:  global
        .offset:         32
        .size:           8
        .value_kind:     global_buffer
      - .address_space:  global
        .offset:         40
        .size:           8
        .value_kind:     global_buffer
      - .address_space:  global
        .offset:         48
        .size:           8
        .value_kind:     global_buffer
      - .address_space:  global
        .offset:         56
        .size:           8
        .value_kind:     global_buffer
      - .offset:         64
        .size:           4
        .value_kind:     by_value
      - .address_space:  global
        .offset:         72
        .size:           8
        .value_kind:     global_buffer
      - .address_space:  global
        .offset:         80
        .size:           8
        .value_kind:     global_buffer
      - .offset:         88
        .size:           4
        .value_kind:     hidden_block_count_x
      - .offset:         92
        .size:           4
        .value_kind:     hidden_block_count_y
      - .offset:         96
        .size:           4
        .value_kind:     hidden_block_count_z
      - .offset:         100
        .size:           2
        .value_kind:     hidden_group_size_x
      - .offset:         102
        .size:           2
        .value_kind:     hidden_group_size_y
      - .offset:         104
        .size:           2
        .value_kind:     hidden_group_size_z
      - .offset:         106
        .size:           2
        .value_kind:     hidden_remainder_x
      - .offset:         108
        .size:           2
        .value_kind:     hidden_remainder_y
      - .offset:         110
        .size:           2
        .value_kind:     hidden_remainder_z
      - .offset:         128
        .size:           8
        .value_kind:     hidden_global_offset_x
      - .offset:         136
        .size:           8
        .value_kind:     hidden_global_offset_y
      - .offset:         144
        .size:           8
        .value_kind:     hidden_global_offset_z
      - .offset:         152
        .size:           2
        .value_kind:     hidden_grid_dims
      - .offset:         208
        .size:           4
        .value_kind:     hidden_dynamic_lds_size
    .group_segment_fixed_size: 0
    .kernarg_segment_align: 8
    .kernarg_segment_size: 344
    .max_flat_workgroup_size: 512
    .name:           _dyt_bwd_kernel
    .private_segment_fixed_size: 0
    .sgpr_count:     48
    .sgpr_spill_count: 0
    .symbol:         _dyt_bwd_kernel.kd
    .uniform_work_group_size: 1
    .uses_dynamic_stack: false
    .vgpr_count:     61
    .vgpr_spill_count: 0
    .wavefront_size: 64
amdhsa.target:   amdgcn-amd-amdhsa--gfx950
amdhsa.version:
  - 1
  - 2
...

	.end_amdgpu_metadata
	.section	.debug_line,"",@progbits
.Lline_table_start0:
